;; amdgpu-corpus repo=triton-lang/triton kind=triton arch=gfx950 opt=O3 lang=triton
	.amdgcn_target "amdgcn-amd-amdhsa--gfx950"
	.amdhsa_code_object_version 5
	.text
	.globl	mxfp_to_bf16_kernel             ; -- Begin function mxfp_to_bf16_kernel
	.p2align	8
	.type	mxfp_to_bf16_kernel,@function
mxfp_to_bf16_kernel:                    ; @mxfp_to_bf16_kernel
.Lfunc_begin0:
	.cfi_sections .debug_frame
	.cfi_startproc
; %bb.13:
	.file	1 "/root/src/amdgpu-assembly/repos/triton-lang__triton-aot" "mxfp_to_bf16.py"
	.loc	1 8 0 prologue_end              ; mxfp_to_bf16.py:8:0
	s_load_dwordx2 s[2:3], s[0:1], 0x0
	s_load_dwordx8 s[4:11], s[0:1], 0x8
	s_load_dwordx2 s[12:13], s[0:1], 0x28
	s_waitcnt lgkmcnt(0)
	s_branch .LBB0_0
	.loc	1 0 0 is_stmt 0                 ; :0:0
.Ltmp0:
	.p2align	8
; %bb.14:
.LBB0_0:
.Ltmp1:
	.loc	1 73 59 is_stmt 1               ; mxfp_to_bf16.py:73:59
	v_readfirstlane_b32 s0, v0
	.loc	1 74 33                         ; mxfp_to_bf16.py:74:33
	s_and_b32 s0, s0, 0xc0
	.loc	1 27 73                         ; mxfp_to_bf16.py:27:73
	v_and_b32_e32 v1, 63, v0
	.loc	1 27 84 is_stmt 0               ; mxfp_to_bf16.py:27:84
	v_mov_b32_e32 v3, 0xe0
	.loc	1 27 34                         ; mxfp_to_bf16.py:27:34
	s_lshl_b32 s10, s14, 9
	.loc	1 27 73                         ; mxfp_to_bf16.py:27:73
	v_or_b32_e32 v2, s0, v1
	.loc	1 27 84                         ; mxfp_to_bf16.py:27:84
	v_bitop3_b32 v1, s0, v3, v1 bitop3:0xc8
	.loc	1 28 38 is_stmt 1               ; mxfp_to_bf16.py:28:38
	v_and_b32_e32 v4, 31, v0
	.loc	1 28 15 is_stmt 0               ; mxfp_to_bf16.py:28:15
	v_or3_b32 v0, s10, v1, v4
	.loc	1 29 52 is_stmt 1               ; mxfp_to_bf16.py:29:52
	s_lshl_b32 s9, s8, 5
	.loc	1 29 48 is_stmt 0               ; mxfp_to_bf16.py:29:48
	v_cmp_gt_i32_e32 vcc, s9, v0
	v_mov_b32_e32 v3, 0
	v_mov_b32_e32 v5, 0
	.loc	1 29 16                         ; mxfp_to_bf16.py:29:16
	s_and_saveexec_b64 s[0:1], vcc
	s_cbranch_execz .LBB0_2
; %bb.1:
	.loc	1 0 16                          ; mxfp_to_bf16.py:0:16
	v_ashrrev_i32_e32 v1, 31, v0
	v_lshl_add_u64 v[0:1], s[2:3], 0, v[0:1]
	.loc	1 52 29 is_stmt 1               ; mxfp_to_bf16.py:52:29
	global_load_ubyte v5, v[0:1], off
.LBB0_2:
	.loc	1 0 29 is_stmt 0                ; mxfp_to_bf16.py:0:29
	s_or_b64 exec, exec, s[0:1]
	.loc	1 27 73 is_stmt 1               ; mxfp_to_bf16.py:27:73
	v_lshrrev_b32_e32 v7, 5, v2
	v_or_b32_e32 v8, 8, v7
	.loc	1 27 84 is_stmt 0               ; mxfp_to_bf16.py:27:84
	v_lshlrev_b32_e32 v0, 5, v8
	.loc	1 28 15 is_stmt 1               ; mxfp_to_bf16.py:28:15
	v_or3_b32 v0, v0, s10, v4
	.loc	1 29 48                         ; mxfp_to_bf16.py:29:48
	v_cmp_gt_i32_e32 vcc, s9, v0
	.loc	1 29 16 is_stmt 0               ; mxfp_to_bf16.py:29:16
	s_and_saveexec_b64 s[0:1], vcc
	s_cbranch_execz .LBB0_4
; %bb.3:
	.loc	1 29 24                         ; mxfp_to_bf16.py:29:24
	v_ashrrev_i32_e32 v1, 31, v0
	v_lshl_add_u64 v[0:1], s[2:3], 0, v[0:1]
	.loc	1 52 29 is_stmt 1               ; mxfp_to_bf16.py:52:29
	global_load_ubyte v3, v[0:1], off
.LBB0_4:
	.loc	1 0 29 is_stmt 0                ; mxfp_to_bf16.py:0:29
	s_or_b64 exec, exec, s[0:1]
	.loc	1 31 33 is_stmt 1               ; mxfp_to_bf16.py:31:33
	s_lshl_b32 s2, s14, 4
	.loc	1 31 48 is_stmt 0               ; mxfp_to_bf16.py:31:48
	v_or_b32_e32 v0, s2, v7
	.loc	1 32 20 is_stmt 1               ; mxfp_to_bf16.py:32:20
	v_mov_b32_e32 v4, 0
	.loc	1 32 56 is_stmt 0               ; mxfp_to_bf16.py:32:56
	v_cmp_gt_i32_e32 vcc, s8, v0
	v_mov_b32_e32 v6, v4
	.loc	1 32 20                         ; mxfp_to_bf16.py:32:20
	s_and_saveexec_b64 s[0:1], vcc
	s_cbranch_execz .LBB0_6
; %bb.5:
	.loc	1 0 20                          ; mxfp_to_bf16.py:0:20
	v_ashrrev_i32_e32 v1, 31, v0
	v_lshl_add_u64 v[0:1], s[4:5], 0, v[0:1]
	.loc	1 32 20                         ; mxfp_to_bf16.py:32:20
	global_load_ubyte v6, v[0:1], off
.LBB0_6:
	.loc	1 0 20                          ; mxfp_to_bf16.py:0:20
	s_or_b64 exec, exec, s[0:1]
	.loc	1 31 48 is_stmt 1               ; mxfp_to_bf16.py:31:48
	v_or_b32_e32 v0, s2, v8
	.loc	1 32 56                         ; mxfp_to_bf16.py:32:56
	v_cmp_gt_i32_e32 vcc, s8, v0
	.loc	1 32 20 is_stmt 0               ; mxfp_to_bf16.py:32:20
	s_and_saveexec_b64 s[0:1], vcc
	s_cbranch_execz .LBB0_8
; %bb.7:
	.loc	1 32 32                         ; mxfp_to_bf16.py:32:32
	s_ashr_i32 s3, s2, 31
	s_add_u32 s2, s4, s2
	s_addc_u32 s3, s5, s3
	.loc	1 32 20                         ; mxfp_to_bf16.py:32:20
	global_load_ubyte v4, v7, s[2:3] offset:8
.LBB0_8:
	.loc	1 0 20                          ; mxfp_to_bf16.py:0:20
	s_or_b64 exec, exec, s[0:1]
	s_mov_b32 s0, 0xc0c0004
	.loc	1 52 29 is_stmt 1               ; mxfp_to_bf16.py:52:29
	s_waitcnt vmcnt(0)
	v_perm_b32 v0, v5, v3, s0
	v_perm_b32 v1, v0, v0, s0
	.loc	1 73 46                         ; mxfp_to_bf16.py:73:46
	v_or_b32_e32 v2, s10, v2
	.loc	1 52 29                         ; mxfp_to_bf16.py:52:29
	v_lshl_or_b32 v0, v1, 16, v0
	.loc	1 74 24                         ; mxfp_to_bf16.py:74:24
	v_ashrrev_i32_e32 v3, 31, v2
	.loc	1 52 29                         ; mxfp_to_bf16.py:52:29
	v_cvt_scalef32_pk_bf16_fp8 v5, v0, 1.0
	.loc	1 74 64                         ; mxfp_to_bf16.py:74:64
	v_cmp_gt_i32_e32 vcc, s9, v2
	.loc	1 74 24 is_stmt 0               ; mxfp_to_bf16.py:74:24
	v_lshl_add_u64 v[0:1], v[2:3], 1, s[6:7]
	.loc	1 74 33                         ; mxfp_to_bf16.py:74:33
	s_and_saveexec_b64 s[0:1], vcc
	s_cbranch_execz .LBB0_10
; %bb.9:
	.loc	1 69 20 is_stmt 1               ; mxfp_to_bf16.py:69:20
	v_mov_b32_e32 v3, 23
	v_lshlrev_b32_sdwa v3, v3, v6 dst_sel:DWORD dst_unused:UNUSED_PAD src0_sel:DWORD src1_sel:BYTE_0
	v_lshlrev_b32_e32 v7, 16, v5
	v_mul_f32_e32 v3, v3, v7
	v_bfe_u32 v7, v3, 16, 1
	s_movk_i32 s3, 0x7fff
	s_movk_i32 s2, 0xff
	v_add3_u32 v7, v3, v7, s3
	v_cmp_o_f32_e32 vcc, v3, v3
	v_mov_b32_e32 v3, 0x7fff
	s_nop 0
	v_cndmask_b32_sdwa v3, v3, v7, vcc dst_sel:DWORD dst_unused:UNUSED_PAD src0_sel:DWORD src1_sel:WORD_1
	.loc	1 71 49                         ; mxfp_to_bf16.py:71:49
	v_mov_b32_e32 v7, 0x7fc0
	v_cmp_ne_u16_sdwa vcc, v6, s2 src0_sel:BYTE_0 src1_sel:DWORD
	s_nop 1
	v_cndmask_b32_e32 v3, v7, v3, vcc
	.loc	1 74 33                         ; mxfp_to_bf16.py:74:33
	global_store_short v[0:1], v3, off
.LBB0_10:
	.loc	1 0 33 is_stmt 0                ; mxfp_to_bf16.py:0:33
	s_or_b64 exec, exec, s[0:1]
	.loc	1 73 46 is_stmt 1               ; mxfp_to_bf16.py:73:46
	v_or_b32_e32 v2, 0x100, v2
	.loc	1 74 64                         ; mxfp_to_bf16.py:74:64
	v_cmp_gt_i32_e32 vcc, s9, v2
	.loc	1 74 33 is_stmt 0               ; mxfp_to_bf16.py:74:33
	s_and_saveexec_b64 s[0:1], vcc
	s_cbranch_execz .LBB0_12
; %bb.11:
	.loc	1 69 20 is_stmt 1               ; mxfp_to_bf16.py:69:20
	v_mov_b32_e32 v3, 23
	v_and_b32_e32 v2, 0xffff0000, v5
	v_lshlrev_b32_sdwa v3, v3, v4 dst_sel:DWORD dst_unused:UNUSED_PAD src0_sel:DWORD src1_sel:BYTE_0
	v_mul_f32_e32 v2, v3, v2
	v_bfe_u32 v3, v2, 16, 1
	s_movk_i32 s1, 0x7fff
	s_movk_i32 s0, 0xff
	v_add3_u32 v3, v2, v3, s1
	v_cmp_o_f32_e32 vcc, v2, v2
	v_mov_b32_e32 v2, 0x7fff
	s_nop 0
	v_cndmask_b32_sdwa v2, v2, v3, vcc dst_sel:DWORD dst_unused:UNUSED_PAD src0_sel:DWORD src1_sel:WORD_1
	.loc	1 71 49                         ; mxfp_to_bf16.py:71:49
	v_mov_b32_e32 v3, 0x7fc0
	v_cmp_ne_u16_sdwa vcc, v4, s0 src0_sel:BYTE_0 src1_sel:DWORD
	s_nop 1
	v_cndmask_b32_e32 v2, v3, v2, vcc
	.loc	1 74 33                         ; mxfp_to_bf16.py:74:33
	global_store_short v[0:1], v2, off offset:512
.LBB0_12:
	.loc	1 74 4 is_stmt 0                ; mxfp_to_bf16.py:74:4
	s_endpgm
.Ltmp2:
	.section	.rodata,"a",@progbits
	.p2align	6, 0x0
	.amdhsa_kernel mxfp_to_bf16_kernel
		.amdhsa_group_segment_fixed_size 0
		.amdhsa_private_segment_fixed_size 0
		.amdhsa_kernarg_size 48
		.amdhsa_user_sgpr_count 14
		.amdhsa_user_sgpr_dispatch_ptr 0
		.amdhsa_user_sgpr_queue_ptr 0
		.amdhsa_user_sgpr_kernarg_segment_ptr 1
		.amdhsa_user_sgpr_dispatch_id 0
		.amdhsa_user_sgpr_kernarg_preload_length 12
		.amdhsa_user_sgpr_kernarg_preload_offset 0
		.amdhsa_user_sgpr_private_segment_size 0
		.amdhsa_uses_dynamic_stack 0
		.amdhsa_enable_private_segment 0
		.amdhsa_system_sgpr_workgroup_id_x 1
		.amdhsa_system_sgpr_workgroup_id_y 0
		.amdhsa_system_sgpr_workgroup_id_z 0
		.amdhsa_system_sgpr_workgroup_info 0
		.amdhsa_system_vgpr_workitem_id 0
		.amdhsa_next_free_vgpr 9
		.amdhsa_next_free_sgpr 15
		.amdhsa_accum_offset 12
		.amdhsa_reserve_vcc 1
		.amdhsa_reserve_xnack_mask 1
		.amdhsa_float_round_mode_32 0
		.amdhsa_float_round_mode_16_64 0
		.amdhsa_float_denorm_mode_32 3
		.amdhsa_float_denorm_mode_16_64 3
		.amdhsa_dx10_clamp 1
		.amdhsa_ieee_mode 1
		.amdhsa_fp16_overflow 0
		.amdhsa_tg_split 0
		.amdhsa_exception_fp_ieee_invalid_op 0
		.amdhsa_exception_fp_denorm_src 0
		.amdhsa_exception_fp_ieee_div_zero 0
		.amdhsa_exception_fp_ieee_overflow 0
		.amdhsa_exception_fp_ieee_underflow 0
		.amdhsa_exception_fp_ieee_inexact 0
		.amdhsa_exception_int_div_zero 0
	.end_amdhsa_kernel
	.text
.Lfunc_end0:
	.size	mxfp_to_bf16_kernel, .Lfunc_end0-mxfp_to_bf16_kernel
	.cfi_endproc
                                        ; -- End function
	.set mxfp_to_bf16_kernel.num_vgpr, 9
	.set mxfp_to_bf16_kernel.num_agpr, 0
	.set mxfp_to_bf16_kernel.numbered_sgpr, 15
	.set mxfp_to_bf16_kernel.num_named_barrier, 0
	.set mxfp_to_bf16_kernel.private_seg_size, 0
	.set mxfp_to_bf16_kernel.uses_vcc, 1
	.set mxfp_to_bf16_kernel.uses_flat_scratch, 0
	.set mxfp_to_bf16_kernel.has_dyn_sized_stack, 0
	.set mxfp_to_bf16_kernel.has_recursion, 0
	.set mxfp_to_bf16_kernel.has_indirect_call, 0
	.section	.AMDGPU.csdata,"",@progbits
; Kernel info:
; codeLenInByte = 808
; TotalNumSgprs: 21
; NumVgprs: 9
; NumAgprs: 0
; TotalNumVgprs: 9
; ScratchSize: 0
; MemoryBound: 0
; FloatMode: 240
; IeeeMode: 1
; LDSByteSize: 0 bytes/workgroup (compile time only)
; SGPRBlocks: 2
; VGPRBlocks: 1
; NumSGPRsForWavesPerEU: 21
; NumVGPRsForWavesPerEU: 9
; AccumOffset: 12
; Occupancy: 8
; WaveLimiterHint : 0
; COMPUTE_PGM_RSRC2:SCRATCH_EN: 0
; COMPUTE_PGM_RSRC2:USER_SGPR: 14
; COMPUTE_PGM_RSRC2:TRAP_HANDLER: 0
; COMPUTE_PGM_RSRC2:TGID_X_EN: 1
; COMPUTE_PGM_RSRC2:TGID_Y_EN: 0
; COMPUTE_PGM_RSRC2:TGID_Z_EN: 0
; COMPUTE_PGM_RSRC2:TIDIG_COMP_CNT: 0
; COMPUTE_PGM_RSRC3_GFX90A:ACCUM_OFFSET: 2
; COMPUTE_PGM_RSRC3_GFX90A:TG_SPLIT: 0
	.text
	.p2alignl 6, 3212836864
	.fill 256, 4, 3212836864
	.section	.AMDGPU.gpr_maximums,"",@progbits
	.set amdgpu.max_num_vgpr, 0
	.set amdgpu.max_num_agpr, 0
	.set amdgpu.max_num_sgpr, 0
	.set amdgpu.max_num_named_barrier, 0
	.text
	.section	.debug_abbrev,"",@progbits
	.byte	1                               ; Abbreviation Code
	.byte	17                              ; DW_TAG_compile_unit
	.byte	0                               ; DW_CHILDREN_no
	.byte	37                              ; DW_AT_producer
	.byte	14                              ; DW_FORM_strp
	.byte	19                              ; DW_AT_language
	.byte	5                               ; DW_FORM_data2
	.byte	3                               ; DW_AT_name
	.byte	14                              ; DW_FORM_strp
	.byte	16                              ; DW_AT_stmt_list
	.byte	23                              ; DW_FORM_sec_offset
	.byte	27                              ; DW_AT_comp_dir
	.byte	14                              ; DW_FORM_strp
	.byte	17                              ; DW_AT_low_pc
	.byte	1                               ; DW_FORM_addr
	.byte	18                              ; DW_AT_high_pc
	.byte	6                               ; DW_FORM_data4
	.byte	0                               ; EOM(1)
	.byte	0                               ; EOM(2)
	;; [unrolled: 1-line block ×3, first 2 shown]
	.section	.debug_info,"",@progbits
.Lcu_begin0:
	.long	.Ldebug_info_end0-.Ldebug_info_start0 ; Length of Unit
.Ldebug_info_start0:
	.short	4                               ; DWARF version number
	.long	.debug_abbrev                   ; Offset Into Abbrev. Section
	.byte	8                               ; Address Size (in bytes)
	.byte	1                               ; Abbrev [1] 0xb:0x1f DW_TAG_compile_unit
	.long	.Linfo_string0                  ; DW_AT_producer
	.short	2                               ; DW_AT_language
	.long	.Linfo_string1                  ; DW_AT_name
	.long	.Lline_table_start0             ; DW_AT_stmt_list
	.long	.Linfo_string2                  ; DW_AT_comp_dir
	.quad	.Lfunc_begin0                   ; DW_AT_low_pc
	.long	.Lfunc_end0-.Lfunc_begin0       ; DW_AT_high_pc
.Ldebug_info_end0:
	.section	.debug_str,"MS",@progbits,1
.Linfo_string0:
	.asciz	"triton"                        ; string offset=0
.Linfo_string1:
	.asciz	"mxfp_to_bf16.py"               ; string offset=7
.Linfo_string2:
	.asciz	"/root/src/amdgpu-assembly/repos/triton-lang__triton-aot" ; string offset=23
	.section	".note.GNU-stack","",@progbits
	.amdgpu_metadata
---
amdhsa.kernels:
  - .agpr_count:     0
    .args:
      - .address_space:  global
        .offset:         0
        .size:           8
        .value_kind:     global_buffer
      - .address_space:  global
        .offset:         8
        .size:           8
        .value_kind:     global_buffer
      - .address_space:  global
        .offset:         16
        .size:           8
        .value_kind:     global_buffer
      - .offset:         24
        .size:           4
        .value_kind:     by_value
      - .address_space:  global
        .offset:         32
        .size:           8
        .value_kind:     global_buffer
      - .address_space:  global
        .offset:         40
        .size:           8
        .value_kind:     global_buffer
    .group_segment_fixed_size: 0
    .kernarg_segment_align: 8
    .kernarg_segment_size: 48
    .max_flat_workgroup_size: 256
    .name:           mxfp_to_bf16_kernel
    .private_segment_fixed_size: 0
    .sgpr_count:     21
    .sgpr_spill_count: 0
    .symbol:         mxfp_to_bf16_kernel.kd
    .uniform_work_group_size: 1
    .uses_dynamic_stack: false
    .vgpr_count:     9
    .vgpr_spill_count: 0
    .wavefront_size: 64
amdhsa.target:   amdgcn-amd-amdhsa--gfx950
amdhsa.version:
  - 1
  - 2
...

	.end_amdgpu_metadata
	.section	.debug_line,"",@progbits
.Lline_table_start0:
